;; amdgpu-corpus repo=ROCm/rocFFT kind=compiled arch=gfx1201 opt=O3
	.text
	.amdgcn_target "amdgcn-amd-amdhsa--gfx1201"
	.amdhsa_code_object_version 6
	.protected	fft_rtc_fwd_len169_factors_13_13_wgs_156_tpt_13_half_op_CI_CI_sbrc_z_xy_aligned ; -- Begin function fft_rtc_fwd_len169_factors_13_13_wgs_156_tpt_13_half_op_CI_CI_sbrc_z_xy_aligned
	.globl	fft_rtc_fwd_len169_factors_13_13_wgs_156_tpt_13_half_op_CI_CI_sbrc_z_xy_aligned
	.p2align	8
	.type	fft_rtc_fwd_len169_factors_13_13_wgs_156_tpt_13_half_op_CI_CI_sbrc_z_xy_aligned,@function
fft_rtc_fwd_len169_factors_13_13_wgs_156_tpt_13_half_op_CI_CI_sbrc_z_xy_aligned: ; @fft_rtc_fwd_len169_factors_13_13_wgs_156_tpt_13_half_op_CI_CI_sbrc_z_xy_aligned
; %bb.0:
	s_load_b256 s[4:11], s[0:1], 0x0
	v_dual_mov_b32 v2, 0 :: v_dual_add_nc_u32 v3, 0x9c, v0
	v_add_nc_u32_e32 v4, 0x138, v0
	v_add_nc_u32_e32 v5, 0x1d4, v0
	v_mul_u32_u24_e32 v1, 0x184, v0
	v_add_nc_u32_e32 v6, 0x270, v0
	v_mul_u32_u24_e32 v7, 0x184, v3
	v_mul_u32_u24_e32 v8, 0x184, v4
	v_add_nc_u32_e32 v19, 0x30c, v0
	v_mul_u32_u24_e32 v9, 0x184, v5
	v_lshrrev_b32_e32 v1, 16, v1
	v_lshrrev_b32_e32 v13, 16, v7
	v_mul_u32_u24_e32 v10, 0x184, v6
	v_lshrrev_b32_e32 v20, 16, v8
	v_mul_u32_u24_e32 v11, 0xc1f, v19
	v_lshrrev_b32_e32 v21, 16, v9
	v_mul_lo_u16 v12, 0xa9, v1
	v_mul_lo_u16 v9, 0xa9, v13
	v_lshrrev_b32_e32 v22, 16, v10
	s_wait_kmcnt 0x0
	s_load_b128 s[16:19], s[8:9], 0x8
	s_clause 0x1
	s_load_b128 s[12:15], s[0:1], 0x58
	s_load_b64 s[20:21], s[0:1], 0x20
	v_mul_lo_u16 v10, 0xa9, v20
	v_lshrrev_b32_e32 v23, 19, v11
	v_mul_lo_u16 v11, 0xa9, v21
	v_sub_nc_u16 v8, v0, v12
	v_sub_nc_u16 v3, v3, v9
	;; [unrolled: 1-line block ×3, first 2 shown]
	v_mul_lo_u16 v12, 0xa9, v22
	v_sub_nc_u16 v5, v5, v11
	v_and_b32_e32 v14, 0xffff, v8
	v_and_b32_e32 v15, 0xffff, v3
	;; [unrolled: 1-line block ×3, first 2 shown]
	v_sub_nc_u16 v24, v6, v12
	v_and_b32_e32 v17, 0xffff, v5
	s_mov_b32 s9, 0
	s_delay_alu instid0(VALU_DEP_2) | instskip(SKIP_2) | instid1(SALU_CYCLE_1)
	v_and_b32_e32 v24, 0xffff, v24
	s_wait_kmcnt 0x0
	s_add_co_i32 s0, s16, -1
	s_mul_hi_u32 s0, s0, 0xaaaaaaab
	s_delay_alu instid0(SALU_CYCLE_1) | instskip(NEXT) | instid1(SALU_CYCLE_1)
	s_lshr_b32 s8, s0, 3
	s_add_co_i32 s17, s8, 1
	s_delay_alu instid0(SALU_CYCLE_1) | instskip(SKIP_3) | instid1(SALU_CYCLE_2)
	s_mul_i32 s18, s17, s18
	s_cvt_f32_u32 s19, s17
	s_cvt_f32_u32 s0, s18
	s_sub_co_i32 s22, 0, s18
	v_rcp_iflag_f32_e32 v7, s0
	s_load_b128 s[0:3], s[10:11], 0x0
	s_wait_kmcnt 0x0
	s_load_b32 s3, s[10:11], 0x10
	s_delay_alu instid0(TRANS32_DEP_1) | instskip(SKIP_1) | instid1(VALU_DEP_1)
	v_readfirstlane_b32 s16, v7
	v_rcp_iflag_f32_e32 v7, s19
	s_mul_f32 s16, s16, 0x4f7ffffe
	s_delay_alu instid0(SALU_CYCLE_3) | instskip(SKIP_1) | instid1(SALU_CYCLE_2)
	s_cvt_u32_f32 s16, s16
	v_mad_co_u64_u32 v[3:4], null, s0, v14, 0
	s_mul_i32 s22, s22, s16
	v_mul_lo_u32 v1, s2, v1
	s_mul_hi_u32 s19, s16, s22
	s_delay_alu instid0(TRANS32_DEP_1)
	v_readfirstlane_b32 s22, v7
	s_wait_alu 0xfffe
	s_add_co_i32 s16, s16, s19
	v_mad_co_u64_u32 v[5:6], null, s0, v15, 0
	s_mul_hi_u32 s16, ttmp9, s16
	s_mul_f32 s22, s22, 0x4f7ffffe
	s_mul_i32 s19, s16, s18
	s_add_co_i32 s23, s16, 1
	s_wait_alu 0xfffe
	s_sub_co_i32 s19, ttmp9, s19
	v_mad_co_u64_u32 v[7:8], null, s0, v16, 0
	s_wait_alu 0xfffe
	s_sub_co_i32 s24, s19, s18
	s_cmp_ge_u32 s19, s18
	v_mad_co_u64_u32 v[9:10], null, s0, v17, 0
	s_cselect_b32 s16, s23, s16
	s_cselect_b32 s19, s24, s19
	s_add_co_i32 s23, s16, 1
	s_wait_alu 0xfffe
	s_cmp_ge_u32 s19, s18
	s_cvt_u32_f32 s19, s22
	s_cselect_b32 s16, s23, s16
	s_not_b32 s8, s8
	s_mul_i32 s18, s16, s18
	s_wait_alu 0xfffe
	s_mul_i32 s8, s8, s19
	s_sub_co_i32 s18, ttmp9, s18
	s_mul_hi_u32 s8, s19, s8
	v_lshlrev_b64_e32 v[11:12], 2, v[1:2]
	s_add_co_i32 s19, s19, s8
	v_mul_lo_u32 v1, s2, v13
	s_wait_alu 0xfffe
	s_mul_hi_u32 s8, s18, s19
	s_mul_hi_u32 s19, ttmp9, s19
	s_mul_i32 s22, s8, s17
	s_wait_alu 0xfffe
	s_mul_i32 s19, s19, s17
	s_sub_co_i32 s18, s18, s22
	s_add_co_i32 s22, s8, 1
	s_wait_alu 0xfffe
	s_sub_co_i32 s23, s18, s17
	s_cmp_ge_u32 s18, s17
	v_mad_co_u64_u32 v[13:14], null, s1, v14, v[4:5]
	s_cselect_b32 s8, s22, s8
	s_cselect_b32 s18, s23, s18
	s_add_co_i32 s22, s8, 1
	s_wait_alu 0xfffe
	s_cmp_ge_u32 s18, s17
	v_mad_co_u64_u32 v[14:15], null, s1, v15, v[6:7]
	s_cselect_b32 s22, s22, s8
	s_sub_co_i32 s8, ttmp9, s19
	v_mad_co_u64_u32 v[15:16], null, s1, v16, v[8:9]
	s_sub_co_i32 s18, s8, s17
	s_cmp_ge_u32 s8, s17
	v_mov_b32_e32 v4, v13
	s_wait_alu 0xfffe
	s_cselect_b32 s8, s18, s8
	v_mov_b32_e32 v6, v14
	s_sub_co_i32 s18, s8, s17
	s_cmp_ge_u32 s8, s17
	s_mov_b32 s17, s9
	s_wait_alu 0xfffe
	s_cselect_b32 s8, s18, s8
	s_lshl_b64 s[18:19], s[6:7], 3
	v_mov_b32_e32 v8, v15
	s_wait_alu 0xfffe
	s_add_nc_u64 s[6:7], s[10:11], s[18:19]
	v_mad_co_u64_u32 v[16:17], null, s1, v17, v[10:11]
	s_load_b64 s[10:11], s[6:7], 0x0
	s_mul_i32 s6, s8, 12
	v_lshlrev_b64_e32 v[17:18], 2, v[1:2]
	v_mul_lo_u32 v1, s2, v20
	s_wait_kmcnt 0x0
	s_mul_i32 s3, s22, s3
	s_mul_i32 s7, s6, s2
	v_lshlrev_b64_e32 v[3:4], 2, v[3:4]
	s_wait_alu 0xfffe
	s_add_co_i32 s8, s7, s3
	v_lshlrev_b64_e32 v[5:6], 2, v[5:6]
	s_lshl_b64 s[24:25], s[8:9], 2
	v_lshlrev_b64_e32 v[7:8], 2, v[7:8]
	v_lshlrev_b64_e32 v[13:14], 2, v[1:2]
	v_mov_b32_e32 v10, v16
	v_mul_lo_u16 v20, 0xa9, v23
	s_mov_b32 s7, s9
	s_delay_alu instid0(VALU_DEP_2) | instskip(SKIP_1) | instid1(SALU_CYCLE_1)
	v_lshlrev_b64_e32 v[9:10], 2, v[9:10]
	s_mul_u64 s[10:11], s[10:11], s[16:17]
	s_lshl_b64 s[10:11], s[10:11], 2
	s_delay_alu instid0(SALU_CYCLE_1) | instskip(NEXT) | instid1(SALU_CYCLE_1)
	s_add_nc_u64 s[10:11], s[12:13], s[10:11]
	s_add_nc_u64 s[10:11], s[10:11], s[24:25]
	s_delay_alu instid0(SALU_CYCLE_1)
	v_add_co_u32 v1, vcc_lo, s10, v3
	v_add_co_ci_u32_e32 v4, vcc_lo, s11, v4, vcc_lo
	v_add_co_u32 v5, vcc_lo, s10, v5
	s_wait_alu 0xfffd
	v_add_co_ci_u32_e32 v6, vcc_lo, s11, v6, vcc_lo
	v_add_co_u32 v7, vcc_lo, s10, v7
	s_wait_alu 0xfffd
	;; [unrolled: 3-line block ×3, first 2 shown]
	v_add_co_ci_u32_e32 v4, vcc_lo, v4, v12, vcc_lo
	v_mad_co_u64_u32 v[11:12], null, s0, v24, 0
	v_add_co_u32 v5, vcc_lo, v5, v17
	s_wait_alu 0xfffd
	v_add_co_ci_u32_e32 v6, vcc_lo, v6, v18, vcc_lo
	v_add_co_u32 v7, vcc_lo, v7, v13
	s_wait_alu 0xfffd
	v_add_co_ci_u32_e32 v8, vcc_lo, v8, v14, vcc_lo
	v_mul_lo_u32 v1, s2, v21
	v_add_co_u32 v16, vcc_lo, s10, v9
	v_mov_b32_e32 v9, v12
	v_sub_nc_u16 v14, v19, v20
	s_wait_alu 0xfffd
	v_add_co_ci_u32_e32 v17, vcc_lo, s11, v10, vcc_lo
	v_add_nc_u32_e32 v18, 0x3a8, v0
	v_mad_co_u64_u32 v[9:10], null, s1, v24, v[9:10]
	v_lshlrev_b64_e32 v[12:13], 2, v[1:2]
	v_and_b32_e32 v19, 0xffff, v14
	s_delay_alu instid0(VALU_DEP_4) | instskip(SKIP_1) | instid1(VALU_DEP_4)
	v_mul_u32_u24_e32 v1, 0xc1f, v18
	v_add_nc_u32_e32 v20, 0x444, v0
	v_add_co_u32 v16, vcc_lo, v16, v12
	v_mov_b32_e32 v12, v9
	v_mad_co_u64_u32 v[14:15], null, s0, v19, 0
	v_lshrrev_b32_e32 v24, 19, v1
	s_wait_alu 0xfffd
	v_add_co_ci_u32_e32 v17, vcc_lo, v17, v13, vcc_lo
	v_lshlrev_b64_e32 v[10:11], 2, v[11:12]
	v_mul_lo_u32 v1, s2, v22
	v_mov_b32_e32 v9, v15
	v_mul_lo_u16 v15, 0xa9, v24
	s_delay_alu instid0(VALU_DEP_2) | instskip(NEXT) | instid1(VALU_DEP_2)
	v_mad_co_u64_u32 v[12:13], null, s1, v19, v[9:10]
	v_sub_nc_u16 v13, v18, v15
	v_mul_u32_u24_e32 v15, 0xc1f, v20
	v_add_co_u32 v18, vcc_lo, s10, v10
	s_wait_alu 0xfffd
	v_add_co_ci_u32_e32 v19, vcc_lo, s11, v11, vcc_lo
	s_delay_alu instid0(VALU_DEP_3)
	v_lshrrev_b32_e32 v25, 19, v15
	v_and_b32_e32 v21, 0xffff, v13
	v_mov_b32_e32 v15, v12
	v_lshlrev_b64_e32 v[9:10], 2, v[1:2]
	v_mul_lo_u32 v1, s2, v23
	v_mul_lo_u16 v13, 0xa9, v25
	v_mad_co_u64_u32 v[11:12], null, s0, v21, 0
	v_add_nc_u32_e32 v23, 0x4e0, v0
	v_add_co_u32 v9, vcc_lo, v18, v9
	s_delay_alu instid0(VALU_DEP_4)
	v_sub_nc_u16 v20, v20, v13
	v_lshlrev_b64_e32 v[13:14], 2, v[14:15]
	s_wait_alu 0xfffd
	v_add_co_ci_u32_e32 v10, vcc_lo, v19, v10, vcc_lo
	v_lshlrev_b64_e32 v[18:19], 2, v[1:2]
	v_and_b32_e32 v26, 0xffff, v20
	v_mul_u32_u24_e32 v1, 0xc1f, v23
	v_mad_co_u64_u32 v[20:21], null, s1, v21, v[12:13]
	s_delay_alu instid0(VALU_DEP_3) | instskip(NEXT) | instid1(VALU_DEP_3)
	v_mad_co_u64_u32 v[21:22], null, s0, v26, 0
	v_lshrrev_b32_e32 v27, 19, v1
	v_add_co_u32 v1, vcc_lo, s10, v13
	s_wait_alu 0xfffd
	v_add_co_ci_u32_e32 v14, vcc_lo, s11, v14, vcc_lo
	s_delay_alu instid0(VALU_DEP_4) | instskip(NEXT) | instid1(VALU_DEP_3)
	v_dual_mov_b32 v12, v20 :: v_dual_mov_b32 v15, v22
	v_add_co_u32 v13, vcc_lo, v1, v18
	s_wait_alu 0xfffd
	s_delay_alu instid0(VALU_DEP_3) | instskip(NEXT) | instid1(VALU_DEP_3)
	v_add_co_ci_u32_e32 v14, vcc_lo, v14, v19, vcc_lo
	v_mad_co_u64_u32 v[18:19], null, s1, v26, v[15:16]
	v_mul_lo_u16 v20, 0xa9, v27
	v_add_nc_u32_e32 v26, 0x57c, v0
	v_mul_lo_u32 v1, s2, v24
	v_lshlrev_b64_e32 v[11:12], 2, v[11:12]
	v_mov_b32_e32 v22, v18
	v_sub_nc_u16 v20, v23, v20
	v_mul_u32_u24_e32 v28, 0xc1f, v26
	s_delay_alu instid0(VALU_DEP_4)
	v_add_co_u32 v15, vcc_lo, s10, v11
	s_wait_alu 0xfffd
	v_add_co_ci_u32_e32 v23, vcc_lo, s11, v12, vcc_lo
	v_and_b32_e32 v24, 0xffff, v20
	v_lshrrev_b32_e32 v18, 19, v28
	v_lshlrev_b64_e32 v[11:12], 2, v[1:2]
	v_mul_lo_u32 v1, s2, v25
	s_delay_alu instid0(VALU_DEP_4) | instskip(NEXT) | instid1(VALU_DEP_4)
	v_mad_co_u64_u32 v[19:20], null, s0, v24, 0
	v_mul_lo_u16 v28, 0xa9, v18
	s_delay_alu instid0(VALU_DEP_4) | instskip(SKIP_2) | instid1(VALU_DEP_4)
	v_add_co_u32 v11, vcc_lo, v15, v11
	s_wait_alu 0xfffd
	v_add_co_ci_u32_e32 v12, vcc_lo, v23, v12, vcc_lo
	v_mov_b32_e32 v15, v20
	v_lshlrev_b64_e32 v[20:21], 2, v[21:22]
	v_lshlrev_b64_e32 v[22:23], 2, v[1:2]
	v_sub_nc_u16 v1, v26, v28
	v_add_nc_u32_e32 v26, 0x618, v0
	v_mad_co_u64_u32 v[24:25], null, s1, v24, v[15:16]
	v_add_co_u32 v15, vcc_lo, s10, v20
	s_wait_alu 0xfffd
	v_add_co_ci_u32_e32 v20, vcc_lo, s11, v21, vcc_lo
	v_and_b32_e32 v25, 0xffff, v1
	s_delay_alu instid0(VALU_DEP_3) | instskip(SKIP_1) | instid1(VALU_DEP_3)
	v_add_co_u32 v21, vcc_lo, v15, v22
	s_wait_alu 0xfffd
	v_add_co_ci_u32_e32 v22, vcc_lo, v20, v23, vcc_lo
	v_mov_b32_e32 v20, v24
	v_mad_co_u64_u32 v[23:24], null, s0, v25, 0
	s_clause 0x7
	global_load_b32 v28, v[3:4], off
	global_load_b32 v29, v[5:6], off
	global_load_b32 v30, v[7:8], off
	global_load_b32 v31, v[16:17], off
	global_load_b32 v32, v[9:10], off
	global_load_b32 v33, v[13:14], off
	global_load_b32 v34, v[11:12], off
	global_load_b32 v21, v[21:22], off
	v_mul_u32_u24_e32 v1, 0xc1f, v26
	v_lshlrev_b64_e32 v[3:4], 2, v[19:20]
	v_dual_mov_b32 v5, v24 :: v_dual_add_nc_u32 v10, 0x750, v0
	s_delay_alu instid0(VALU_DEP_3) | instskip(SKIP_1) | instid1(VALU_DEP_3)
	v_lshrrev_b32_e32 v16, 19, v1
	v_mul_lo_u32 v1, s2, v27
	v_mad_co_u64_u32 v[5:6], null, s1, v25, v[5:6]
	v_add_nc_u32_e32 v7, 0x6b4, v0
	s_delay_alu instid0(VALU_DEP_4) | instskip(NEXT) | instid1(VALU_DEP_3)
	v_mul_lo_u16 v8, 0xa9, v16
	v_mov_b32_e32 v24, v5
	s_delay_alu instid0(VALU_DEP_3) | instskip(NEXT) | instid1(VALU_DEP_3)
	v_mul_u32_u24_e32 v9, 0xc1f, v7
	v_sub_nc_u16 v6, v26, v8
	v_mul_u32_u24_e32 v8, 0xc1f, v10
	s_delay_alu instid0(VALU_DEP_3)
	v_lshrrev_b32_e32 v20, 19, v9
	v_add_co_u32 v9, vcc_lo, s10, v3
	s_wait_alu 0xfffd
	v_add_co_ci_u32_e32 v11, vcc_lo, s11, v4, vcc_lo
	v_lshlrev_b64_e32 v[3:4], 2, v[1:2]
	v_mul_lo_u16 v1, 0xa9, v20
	v_and_b32_e32 v12, 0xffff, v6
	v_lshrrev_b32_e32 v22, 19, v8
	s_delay_alu instid0(VALU_DEP_3) | instskip(NEXT) | instid1(VALU_DEP_3)
	v_sub_nc_u16 v7, v7, v1
	v_mad_co_u64_u32 v[5:6], null, s0, v12, 0
	s_delay_alu instid0(VALU_DEP_3) | instskip(SKIP_1) | instid1(VALU_DEP_4)
	v_mul_lo_u16 v1, 0xa9, v22
	v_add_co_u32 v3, vcc_lo, v9, v3
	v_and_b32_e32 v17, 0xffff, v7
	v_lshlrev_b64_e32 v[7:8], 2, v[23:24]
	s_wait_alu 0xfffd
	v_add_co_ci_u32_e32 v4, vcc_lo, v11, v4, vcc_lo
	v_sub_nc_u16 v9, v10, v1
	v_mul_lo_u32 v1, s2, v18
	s_delay_alu instid0(VALU_DEP_4) | instskip(NEXT) | instid1(VALU_DEP_3)
	v_mad_co_u64_u32 v[11:12], null, s1, v12, v[6:7]
	v_and_b32_e32 v18, 0xffff, v9
	v_add_co_u32 v19, vcc_lo, s10, v7
	s_wait_alu 0xfffd
	v_add_co_ci_u32_e32 v23, vcc_lo, s11, v8, vcc_lo
	s_delay_alu instid0(VALU_DEP_3) | instskip(SKIP_4) | instid1(VALU_DEP_4)
	v_mad_co_u64_u32 v[12:13], null, s0, v18, 0
	v_mov_b32_e32 v6, v11
	v_mad_co_u64_u32 v[9:10], null, s0, v17, 0
	v_lshlrev_b64_e32 v[14:15], 2, v[1:2]
	v_mul_lo_u32 v1, s2, v16
	v_lshlrev_b64_e32 v[5:6], 2, v[5:6]
	s_delay_alu instid0(VALU_DEP_4) | instskip(NEXT) | instid1(VALU_DEP_4)
	v_mov_b32_e32 v7, v10
	v_add_co_u32 v14, vcc_lo, v19, v14
	s_wait_alu 0xfffd
	v_add_co_ci_u32_e32 v15, vcc_lo, v23, v15, vcc_lo
	s_delay_alu instid0(VALU_DEP_3) | instskip(SKIP_3) | instid1(VALU_DEP_3)
	v_mad_co_u64_u32 v[7:8], null, s1, v17, v[7:8]
	v_mov_b32_e32 v8, v13
	v_lshlrev_b64_e32 v[16:17], 2, v[1:2]
	v_mul_lo_u32 v1, s2, v20
	v_mad_co_u64_u32 v[18:19], null, s1, v18, v[8:9]
	v_mov_b32_e32 v10, v7
	v_add_co_u32 v7, vcc_lo, s10, v5
	s_wait_alu 0xfffd
	v_add_co_ci_u32_e32 v8, vcc_lo, s11, v6, vcc_lo
	s_delay_alu instid0(VALU_DEP_3) | instskip(SKIP_4) | instid1(VALU_DEP_4)
	v_lshlrev_b64_e32 v[5:6], 2, v[9:10]
	v_mov_b32_e32 v13, v18
	v_lshlrev_b64_e32 v[9:10], 2, v[1:2]
	v_mul_lo_u32 v1, s2, v22
	v_add_co_u32 v7, vcc_lo, v7, v16
	v_lshlrev_b64_e32 v[11:12], 2, v[12:13]
	s_wait_alu 0xfffd
	v_add_co_ci_u32_e32 v8, vcc_lo, v8, v17, vcc_lo
	v_add_co_u32 v13, vcc_lo, s10, v5
	s_wait_alu 0xfffd
	v_add_co_ci_u32_e32 v16, vcc_lo, s11, v6, vcc_lo
	v_add_co_u32 v11, vcc_lo, s10, v11
	v_lshlrev_b64_e32 v[5:6], 2, v[1:2]
	s_wait_alu 0xfffd
	v_add_co_ci_u32_e32 v12, vcc_lo, s11, v12, vcc_lo
	v_add_co_u32 v9, vcc_lo, v13, v9
	s_wait_alu 0xfffd
	v_add_co_ci_u32_e32 v10, vcc_lo, v16, v10, vcc_lo
	v_add_co_u32 v5, vcc_lo, v11, v5
	s_wait_alu 0xfffd
	v_add_co_ci_u32_e32 v6, vcc_lo, v12, v6, vcc_lo
	s_clause 0x4
	global_load_b32 v3, v[3:4], off
	global_load_b32 v11, v[14:15], off
	;; [unrolled: 1-line block ×5, first 2 shown]
	v_mul_u32_u24_e32 v1, 0x13b2, v0
	v_lshl_add_u32 v9, v0, 2, 0
	s_add_nc_u64 s[10:11], s[20:21], s[18:19]
	s_clause 0x2
	s_load_b128 s[0:3], s[20:21], 0x0
	s_load_b32 s8, s[20:21], 0x10
	s_load_b64 s[10:11], s[10:11], 0x0
	s_wait_kmcnt 0x0
	s_mov_b32 s3, s9
	v_lshrrev_b32_e32 v1, 16, v1
	v_add_nc_u32_e32 v10, 0x400, v9
	v_add_nc_u32_e32 v12, 0x900, v9
	;; [unrolled: 1-line block ×5, first 2 shown]
	v_mul_lo_u16 v1, v1, 13
	s_delay_alu instid0(VALU_DEP_2) | instskip(NEXT) | instid1(VALU_DEP_2)
	v_mul_hi_u32 v6, 0xaaaaaaab, v4
	v_sub_nc_u16 v1, v0, v1
	s_mul_i32 s2, s22, s2
	s_delay_alu instid0(VALU_DEP_2) | instskip(SKIP_2) | instid1(VALU_DEP_1)
	v_lshrrev_b32_e32 v6, 3, v6
	s_wait_alu 0xfffe
	s_lshl_b64 s[2:3], s[2:3], 2
	v_mul_lo_u32 v6, v6, 12
	s_delay_alu instid0(VALU_DEP_1) | instskip(SKIP_1) | instid1(VALU_DEP_2)
	v_sub_nc_u32_e32 v6, v4, v6
	v_and_b32_e32 v4, 0xffff, v1
	v_mul_u32_u24_e32 v1, 0xa9, v6
	s_delay_alu instid0(VALU_DEP_2)
	v_lshlrev_b32_e32 v15, 2, v4
	v_add_nc_u32_e32 v6, 0xe00, v9
	s_wait_loadcnt 0xb
	ds_store_2addr_b32 v9, v28, v29 offset1:156
	s_wait_loadcnt 0x9
	ds_store_2addr_b32 v10, v30, v31 offset0:56 offset1:212
	s_wait_loadcnt 0x7
	ds_store_2addr_b32 v12, v32, v33 offset0:48 offset1:204
	;; [unrolled: 2-line block ×5, first 2 shown]
	s_wait_loadcnt 0x0
	ds_store_b32 v9, v5 offset:7488
	v_lshlrev_b32_e32 v16, 2, v1
	global_wb scope:SCOPE_SE
	s_wait_dscnt 0x0
	s_barrier_signal -1
	s_barrier_wait -1
	global_inv scope:SCOPE_SE
	v_add_nc_u32_e32 v5, 0, v16
	v_add3_u32 v1, 0, v15, v16
	s_delay_alu instid0(VALU_DEP_2)
	v_add_nc_u32_e32 v3, v5, v15
	ds_load_2addr_b32 v[6:7], v1 offset0:13 offset1:26
	ds_load_2addr_b32 v[8:9], v1 offset0:39 offset1:52
	;; [unrolled: 1-line block ×6, first 2 shown]
	ds_load_b32 v18, v3
	v_mad_u32_u24 v5, v4, 52, v5
	v_mul_u32_u24_e32 v4, 12, v4
	global_wb scope:SCOPE_SE
	s_wait_dscnt 0x0
	s_barrier_signal -1
	s_barrier_wait -1
	global_inv scope:SCOPE_SE
	v_lshrrev_b32_e32 v21, 16, v8
	v_lshrrev_b32_e32 v19, 16, v6
	;; [unrolled: 1-line block ×5, first 2 shown]
	v_add_f16_e32 v32, v17, v6
	v_sub_f16_e32 v33, v6, v17
	v_add_f16_e32 v6, v6, v18
	v_add_f16_e32 v44, v30, v19
	v_sub_f16_e32 v45, v19, v30
	v_add_f16_e32 v19, v19, v31
	v_lshrrev_b32_e32 v22, 16, v9
	v_add_f16_e32 v6, v6, v7
	v_lshrrev_b32_e32 v23, 16, v10
	v_lshrrev_b32_e32 v24, 16, v11
	v_add_f16_e32 v19, v19, v20
	v_lshrrev_b32_e32 v25, 16, v12
	v_add_f16_e32 v6, v6, v8
	;; [unrolled: 2-line block ×3, first 2 shown]
	v_add_f16_e32 v19, v19, v21
	v_sub_f16_e32 v43, v11, v12
	v_add_f16_e32 v6, v6, v9
	v_lshrrev_b32_e32 v27, 16, v14
	v_lshrrev_b32_e32 v28, 16, v15
	v_add_f16_e32 v19, v19, v22
	v_lshrrev_b32_e32 v29, 16, v16
	v_add_f16_e32 v6, v6, v10
	v_add_f16_e32 v34, v16, v7
	v_sub_f16_e32 v35, v7, v16
	v_add_f16_e32 v19, v19, v23
	v_mul_f16_e32 v47, 0xba95, v33
	v_add_f16_e32 v6, v6, v11
	v_sub_f16_e32 v52, v20, v29
	v_mul_f16_e32 v7, 0xb770, v45
	v_add_f16_e32 v19, v19, v24
	v_mul_f16_e32 v71, 0xba95, v45
	v_add_f16_e32 v6, v6, v12
	v_mul_f16_e32 v73, 0xbbf1, v45
	v_mul_f16_e32 v75, 0xbb7b, v45
	v_add_f16_e32 v12, v19, v25
	v_mul_f16_e32 v77, 0xb94e, v45
	v_add_f16_e32 v6, v6, v13
	v_sub_f16_e32 v37, v8, v15
	v_add_f16_e32 v40, v13, v10
	v_add_f16_e32 v12, v12, v26
	v_sub_f16_e32 v41, v10, v13
	v_add_f16_e32 v6, v6, v14
	v_mul_f16_e32 v46, 0xb770, v33
	v_mul_f16_e32 v48, 0xbbf1, v33
	v_add_f16_e32 v12, v12, v27
	v_mul_f16_e32 v49, 0xbb7b, v33
	v_add_f16_e32 v6, v6, v15
	;; [unrolled: 2-line block ×3, first 2 shown]
	v_add_f16_e32 v12, v12, v28
	v_mul_f16_e32 v54, 0xbb7b, v35
	v_add_f16_e32 v6, v6, v16
	v_sub_f16_e32 v59, v21, v28
	v_add_f16_e32 v68, v25, v24
	v_add_f16_e32 v12, v12, v29
	v_sub_f16_e32 v69, v24, v25
	v_fmamk_f16 v72, v44, 0x388b, v47
	v_fma_f16 v47, v44, 0x388b, -v47
	v_mul_f16_e32 v79, 0xba95, v52
	v_mul_f16_e32 v81, 0xbb7b, v52
	;; [unrolled: 1-line block ×5, first 2 shown]
	v_fma_f16 v90, v32, 0x3b15, -v7
	v_fmac_f16_e32 v7, 0x3b15, v32
	v_fma_f16 v24, v32, 0x388b, -v71
	v_fmac_f16_e32 v71, 0x388b, v32
	v_fma_f16 v19, v32, 0x2fb7, -v73
	v_fmac_f16_e32 v73, 0x2fb7, v32
	v_fma_f16 v13, v32, 0xb5ac, -v75
	v_fmac_f16_e32 v75, 0xb5ac, v32
	v_fma_f16 v25, v32, 0xb9fd, -v77
	v_fmac_f16_e32 v77, 0xb9fd, v32
	v_add_f16_e32 v6, v6, v17
	v_add_f16_e32 v12, v12, v30
	v_pack_b32_f16 v32, v33, v32
	v_add_f16_e32 v36, v15, v8
	v_add_f16_e32 v38, v14, v9
	v_sub_f16_e32 v39, v9, v14
	v_mul_f16_e32 v53, 0xba95, v35
	v_mul_f16_e32 v55, 0xb3a8, v35
	;; [unrolled: 1-line block ×4, first 2 shown]
	v_add_f16_e32 v58, v28, v21
	v_mul_f16_e32 v61, 0xb3a8, v37
	v_add_f16_e32 v64, v27, v22
	v_sub_f16_e32 v65, v22, v27
	v_add_f16_e32 v66, v26, v23
	v_sub_f16_e32 v67, v23, v26
	v_fmamk_f16 v70, v44, 0x3b15, v46
	v_fma_f16 v46, v44, 0x3b15, -v46
	v_fmamk_f16 v74, v44, 0x2fb7, v48
	v_fma_f16 v48, v44, 0x2fb7, -v48
	;; [unrolled: 2-line block ×5, first 2 shown]
	v_mul_f16_e32 v89, 0xbbf1, v59
	v_mul_f16_e32 v8, 0xb3a8, v59
	;; [unrolled: 1-line block ×5, first 2 shown]
	v_fma_f16 v26, v34, 0x388b, -v79
	v_fmac_f16_e32 v79, 0x388b, v34
	v_fma_f16 v14, v34, 0xb5ac, -v81
	v_fmac_f16_e32 v81, 0xb5ac, v34
	;; [unrolled: 2-line block ×5, first 2 shown]
	v_and_b32_e32 v6, 0xffff, v6
	v_lshlrev_b32_e32 v12, 16, v12
	v_add_f16_e32 v47, v47, v31
	v_pack_b32_f16 v44, v44, v45
	v_pk_mul_f16 v32, 0xbbc4b3a8, v32
	v_add_f16_e32 v90, v90, v18
	v_add_f16_e32 v24, v24, v18
	v_pack_b32_f16 v34, v35, v34
	v_mul_f16_e32 v60, 0xbbf1, v37
	v_mul_f16_e32 v62, 0x3b7b, v37
	;; [unrolled: 1-line block ×3, first 2 shown]
	v_fmamk_f16 v80, v51, 0x388b, v53
	v_fma_f16 v53, v51, 0x388b, -v53
	v_fmamk_f16 v84, v51, 0xbbc4, v55
	v_fma_f16 v55, v51, 0xbbc4, -v55
	;; [unrolled: 2-line block ×5, first 2 shown]
	v_fma_f16 v28, v36, 0x2fb7, -v89
	v_fmac_f16_e32 v89, 0x2fb7, v36
	v_fma_f16 v17, v36, 0xbbc4, -v8
	v_fmac_f16_e32 v8, 0xbbc4, v36
	;; [unrolled: 2-line block ×4, first 2 shown]
	v_or_b32_e32 v6, v12, v6
	v_fma_f16 v12, v36, 0x388b, -v11
	v_mul_f16_e32 v33, 0xba95, v37
	v_add_f16_e32 v70, v70, v31
	v_add_f16_e32 v46, v46, v31
	;; [unrolled: 1-line block ×9, first 2 shown]
	v_pk_fma_f16 v50, 0xb3a8bbc4, v44, v32 neg_lo:[0,1,0] neg_hi:[0,1,0]
	v_pk_fma_f16 v78, 0xb3a8bbc4, v44, v32
	v_pk_fma_f16 v32, 0xb3a8bbc4, v44, v32 neg_lo:[0,0,1] neg_hi:[0,0,1]
	v_fmac_f16_e32 v11, 0x388b, v36
	v_add_f16_e32 v7, v7, v18
	v_add_f16_e32 v71, v71, v18
	;; [unrolled: 1-line block ×6, first 2 shown]
	v_mul_f16_e32 v24, 0x394e, v39
	v_add_f16_e32 v47, v54, v47
	v_pack_b32_f16 v51, v51, v52
	v_pk_mul_f16 v34, 0x3b153770, v34
	v_pack_b32_f16 v36, v37, v36
	v_fmamk_f16 v20, v58, 0x2fb7, v60
	v_fma_f16 v60, v58, 0x2fb7, -v60
	v_fmamk_f16 v22, v58, 0xb5ac, v62
	v_fma_f16 v62, v58, 0xb5ac, -v62
	;; [unrolled: 2-line block ×3, first 2 shown]
	v_fmamk_f16 v44, v58, 0x388b, v33
	v_add_f16_e32 v73, v73, v18
	v_add_f16_e32 v75, v75, v18
	;; [unrolled: 1-line block ×4, first 2 shown]
	v_pk_add_f16 v50, v50, v18 op_sel:[0,1] op_sel_hi:[1,0]
	v_pk_add_f16 v78, v78, v18 op_sel:[0,1] op_sel_hi:[1,0]
	;; [unrolled: 1-line block ×3, first 2 shown]
	v_mul_f16_e32 v32, 0xbb7b, v65
	v_fma_f16 v33, v58, 0x388b, -v33
	v_add_f16_e32 v7, v79, v7
	v_add_f16_e32 v46, v53, v46
	v_mul_f16_e32 v53, 0x394e, v65
	v_add_f16_e32 v71, v81, v71
	v_fmamk_f16 v81, v64, 0xb9fd, v24
	v_mul_f16_e32 v54, 0x3770, v65
	v_add_f16_e32 v15, v15, v19
	v_mul_f16_e32 v19, 0x3770, v39
	v_fma_f16 v24, v64, 0xb9fd, -v24
	v_add_f16_e32 v48, v55, v48
	v_mul_f16_e32 v55, 0xbbf1, v65
	v_add_f16_e32 v13, v27, v13
	v_mul_f16_e32 v27, 0xbbf1, v39
	;; [unrolled: 2-line block ×3, first 2 shown]
	v_add_f16_e32 v76, v88, v76
	v_pk_fma_f16 v88, 0x37703b15, v51, v34 neg_lo:[0,1,0] neg_hi:[0,1,0]
	v_add_f16_e32 v26, v28, v26
	v_mul_f16_e32 v28, 0x3bf1, v41
	v_add_f16_e32 v47, v61, v47
	v_pack_b32_f16 v58, v58, v59
	v_pk_mul_f16 v36, 0xb9fdb94e, v36
	v_add_f16_e32 v70, v80, v70
	v_fma_f16 v80, v38, 0xb5ac, -v32
	v_fmac_f16_e32 v32, 0xb5ac, v38
	v_add_f16_e32 v72, v82, v72
	v_fma_f16 v82, v38, 0xb9fd, -v53
	v_fmac_f16_e32 v53, 0xb9fd, v38
	v_add_f16_e32 v74, v84, v74
	v_fma_f16 v84, v38, 0x3b15, -v54
	v_add_f16_e32 v73, v83, v73
	v_fmamk_f16 v83, v64, 0x3b15, v19
	v_fmac_f16_e32 v54, 0x3b15, v38
	v_fma_f16 v19, v64, 0x3b15, -v19
	v_fma_f16 v86, v38, 0x2fb7, -v55
	v_add_f16_e32 v75, v85, v75
	v_fmamk_f16 v85, v64, 0x2fb7, v27
	v_fmac_f16_e32 v55, 0x2fb7, v38
	v_add_f16_e32 v49, v56, v49
	v_mul_f16_e32 v56, 0x33a8, v39
	v_fma_f16 v52, v38, 0xbbc4, -v35
	v_fmac_f16_e32 v35, 0xbbc4, v38
	v_add_f16_e32 v31, v57, v31
	v_pk_add_f16 v50, v88, v50
	v_pk_fma_f16 v57, 0x37703b15, v51, v34
	v_pk_fma_f16 v34, 0x37703b15, v51, v34 neg_lo:[0,0,1] neg_hi:[0,0,1]
	v_add_f16_e32 v7, v89, v7
	v_fmamk_f16 v89, v66, 0x2fb7, v28
	v_add_f16_e32 v14, v17, v14
	v_mul_f16_e32 v17, 0xba95, v41
	v_fma_f16 v28, v66, 0x2fb7, -v28
	v_add_f16_e32 v15, v29, v15
	v_mul_f16_e32 v29, 0x33a8, v41
	v_add_f16_e32 v48, v62, v48
	v_add_f16_e32 v23, v23, v45
	;; [unrolled: 1-line block ×3, first 2 shown]
	v_pk_fma_f16 v76, 0xb94eb9fd, v58, v36 neg_lo:[0,1,0] neg_hi:[0,1,0]
	v_add_f16_e32 v24, v24, v47
	v_pack_b32_f16 v38, v39, v38
	v_mul_f16_e32 v90, 0xbb7b, v39
	v_fma_f16 v27, v64, 0x2fb7, -v27
	v_add_f16_e32 v16, v16, v25
	v_fmamk_f16 v25, v64, 0xbbc4, v56
	v_add_f16_e32 v77, v87, v77
	v_mul_f16_e32 v87, 0xb94e, v67
	v_pk_add_f16 v18, v34, v18
	v_mul_f16_e32 v34, 0x3bf1, v67
	v_add_f16_e32 v8, v8, v71
	v_fmamk_f16 v71, v66, 0x388b, v17
	v_fma_f16 v17, v66, 0x388b, -v17
	v_add_f16_e32 v9, v9, v73
	v_fmamk_f16 v73, v66, 0xbbc4, v29
	v_add_f16_e32 v49, v63, v49
	v_add_f16_e32 v31, v33, v31
	v_pk_add_f16 v33, v76, v50
	v_pk_fma_f16 v50, 0xb94eb9fd, v58, v36
	v_pk_fma_f16 v36, 0xb94eb9fd, v58, v36 neg_lo:[0,0,1] neg_hi:[0,0,1]
	v_add_f16_e32 v19, v19, v48
	v_add_f16_e32 v23, v85, v23
	v_pack_b32_f16 v39, v64, v65
	v_pk_mul_f16 v38, 0x388b3a95, v38
	v_add_f16_e32 v24, v28, v24
	v_pack_b32_f16 v28, v41, v40
	v_fma_f16 v51, v40, 0xb9fd, -v87
	v_add_f16_e32 v20, v20, v70
	v_fma_f16 v70, v40, 0x2fb7, -v34
	v_fmac_f16_e32 v34, 0x2fb7, v40
	v_fma_f16 v29, v66, 0xbbc4, -v29
	v_mul_f16_e32 v37, 0xb3a8, v69
	v_pk_add_f16 v18, v36, v18
	v_add_f16_e32 v26, v80, v26
	v_add_f16_e32 v8, v53, v8
	;; [unrolled: 1-line block ×4, first 2 shown]
	v_pk_fma_f16 v44, 0x3a95388b, v39, v38 neg_lo:[0,1,0] neg_hi:[0,1,0]
	v_pk_fma_f16 v48, 0x3a95388b, v39, v38
	v_pk_fma_f16 v38, 0x3a95388b, v39, v38 neg_lo:[0,0,1] neg_hi:[0,0,1]
	v_add_f16_e32 v17, v17, v19
	v_add_f16_e32 v19, v73, v23
	v_pack_b32_f16 v23, v66, v67
	v_pk_mul_f16 v28, 0xb5acbb7b, v28
	v_fma_f16 v56, v64, 0xbbc4, -v56
	v_pk_add_f16 v57, v57, v78
	v_add_f16_e32 v22, v22, v74
	v_mul_f16_e32 v62, 0x3770, v67
	v_add_f16_e32 v13, v30, v13
	v_mul_f16_e32 v30, 0x3770, v41
	v_fma_f16 v59, v42, 0xbbc4, -v37
	v_add_f16_e32 v12, v12, v16
	v_pk_add_f16 v18, v38, v18
	v_add_f16_e32 v26, v51, v26
	v_add_f16_e32 v8, v34, v8
	;; [unrolled: 1-line block ×3, first 2 shown]
	v_pk_fma_f16 v29, 0xbb7bb5ac, v23, v28 neg_lo:[0,1,0] neg_hi:[0,1,0]
	v_pk_fma_f16 v34, 0xbb7bb5ac, v23, v28
	v_pk_fma_f16 v23, 0xbb7bb5ac, v23, v28 neg_lo:[0,0,1] neg_hi:[0,0,1]
	v_fmamk_f16 v79, v64, 0xb5ac, v90
	v_mul_f16_e32 v88, 0xb94e, v41
	v_add_f16_e32 v21, v21, v72
	v_fma_f16 v90, v64, 0xb5ac, -v90
	v_add_f16_e32 v46, v60, v46
	v_mul_f16_e32 v60, 0xba95, v67
	v_mul_f16_e32 v61, 0x33a8, v67
	v_fma_f16 v45, v40, 0x3b15, -v62
	v_add_f16_e32 v10, v10, v75
	v_fmamk_f16 v75, v66, 0x3b15, v30
	v_fma_f16 v30, v66, 0x3b15, -v30
	v_add_f16_e32 v11, v11, v77
	v_pk_add_f16 v50, v50, v57
	v_mul_f16_e32 v80, 0xb94e, v43
	v_mul_f16_e32 v47, 0xbb7b, v69
	v_add_f16_e32 v15, v84, v15
	v_mul_f16_e32 v84, 0xbb7b, v43
	v_add_f16_e32 v22, v83, v22
	v_add_f16_e32 v12, v52, v12
	;; [unrolled: 1-line block ×3, first 2 shown]
	v_pk_add_f16 v18, v23, v18
	v_add_f16_e32 v23, v59, v26
	v_pack_b32_f16 v26, v43, v42
	v_fmamk_f16 v78, v66, 0xb9fd, v88
	v_mul_f16_e32 v63, 0xb3a8, v43
	v_mul_f16_e32 v77, 0x3770, v69
	;; [unrolled: 1-line block ×3, first 2 shown]
	v_add_f16_e32 v20, v79, v20
	v_add_f16_e32 v14, v82, v14
	;; [unrolled: 1-line block ×3, first 2 shown]
	v_fma_f16 v72, v40, 0x388b, -v60
	v_fma_f16 v74, v40, 0xbbc4, -v61
	v_mul_f16_e32 v36, 0xb94e, v69
	v_add_f16_e32 v46, v90, v46
	v_mul_f16_e32 v90, 0x3a95, v69
	v_mul_f16_e32 v82, 0x3a95, v43
	v_add_f16_e32 v13, v86, v13
	v_add_f16_e32 v7, v32, v7
	v_fmamk_f16 v32, v68, 0xb9fd, v80
	v_fma_f16 v83, v42, 0xb5ac, -v47
	v_add_f16_e32 v9, v54, v9
	v_fmamk_f16 v54, v68, 0xb5ac, v84
	v_add_f16_e32 v11, v35, v11
	v_pk_add_f16 v33, v44, v33
	v_pk_add_f16 v35, v48, v50
	v_add_f16_e32 v22, v71, v22
	v_add_f16_e32 v12, v45, v12
	;; [unrolled: 1-line block ×4, first 2 shown]
	v_pack_b32_f16 v31, v68, v69
	v_pk_mul_f16 v26, 0x2fb73bf1, v26
	v_fmac_f16_e32 v61, 0xbbc4, v40
	v_fmac_f16_e32 v62, 0x3b15, v40
	v_add_f16_e32 v10, v55, v10
	v_fmac_f16_e32 v60, 0x388b, v40
	v_fmac_f16_e32 v87, 0xb9fd, v40
	v_fma_f16 v88, v66, 0xb9fd, -v88
	v_fmamk_f16 v16, v68, 0xbbc4, v63
	v_fma_f16 v58, v42, 0x3b15, -v77
	v_fmamk_f16 v57, v68, 0x3b15, v76
	v_add_f16_e32 v20, v78, v20
	v_add_f16_e32 v14, v70, v14
	;; [unrolled: 1-line block ×3, first 2 shown]
	v_fma_f16 v79, v42, 0xb9fd, -v36
	v_fma_f16 v81, v42, 0x388b, -v90
	v_fmamk_f16 v53, v68, 0x388b, v82
	v_add_f16_e32 v15, v72, v15
	v_add_f16_e32 v13, v74, v13
	v_pk_add_f16 v29, v29, v33
	v_pk_add_f16 v30, v34, v35
	v_add_f16_e32 v22, v32, v22
	v_add_f16_e32 v12, v83, v12
	;; [unrolled: 1-line block ×3, first 2 shown]
	v_pk_fma_f16 v32, 0x3bf12fb7, v31, v26 neg_lo:[0,1,0] neg_hi:[0,1,0]
	v_pk_fma_f16 v33, 0x3bf12fb7, v31, v26
	v_pk_fma_f16 v26, 0x3bf12fb7, v31, v26 neg_lo:[0,0,1] neg_hi:[0,0,1]
	v_fmac_f16_e32 v90, 0x388b, v42
	v_fma_f16 v82, v68, 0x388b, -v82
	v_fmac_f16_e32 v47, 0xb5ac, v42
	v_fma_f16 v84, v68, 0xb5ac, -v84
	v_add_f16_e32 v10, v61, v10
	v_add_f16_e32 v11, v62, v11
	v_fmac_f16_e32 v77, 0x3b15, v42
	v_fma_f16 v76, v68, 0x3b15, -v76
	v_fmac_f16_e32 v36, 0xb9fd, v42
	v_fma_f16 v80, v68, 0xb9fd, -v80
	v_add_f16_e32 v9, v60, v9
	v_fmac_f16_e32 v37, 0xbbc4, v42
	v_fma_f16 v63, v68, 0xbbc4, -v63
	v_add_f16_e32 v7, v87, v7
	v_add_f16_e32 v38, v88, v46
	;; [unrolled: 1-line block ×8, first 2 shown]
	v_pk_add_f16 v29, v32, v29
	v_pk_add_f16 v30, v33, v30
	;; [unrolled: 1-line block ×3, first 2 shown]
	v_pack_b32_f16 v12, v12, v25
	v_add_f16_e32 v10, v90, v10
	v_add_f16_e32 v27, v82, v27
	;; [unrolled: 1-line block ×10, first 2 shown]
	v_pack_b32_f16 v14, v14, v21
	v_pack_b32_f16 v16, v23, v16
	;; [unrolled: 1-line block ×4, first 2 shown]
	ds_store_2addr_b32 v5, v6, v12 offset1:5
	v_alignbit_b32 v6, v18, v30, 16
	v_alignbit_b32 v12, v30, v29, 16
	v_pack_b32_f16 v10, v10, v27
	v_pack_b32_f16 v11, v11, v28
	;; [unrolled: 1-line block ×5, first 2 shown]
	ds_store_2addr_b32 v5, v16, v14 offset0:1 offset1:2
	ds_store_2addr_b32 v5, v15, v13 offset0:3 offset1:4
	;; [unrolled: 1-line block ×5, first 2 shown]
	ds_store_b32 v5, v7 offset:48
	v_lshlrev_b32_e32 v8, 2, v4
	global_wb scope:SCOPE_SE
	s_wait_dscnt 0x0
	s_barrier_signal -1
	s_barrier_wait -1
	global_inv scope:SCOPE_SE
	s_clause 0x2
	global_load_b128 v[4:7], v8, s[4:5]
	global_load_b128 v[10:13], v8, s[4:5] offset:16
	global_load_b128 v[14:17], v8, s[4:5] offset:32
	ds_load_2addr_b32 v[18:19], v1 offset0:65 offset1:78
	ds_load_2addr_b32 v[20:21], v1 offset0:91 offset1:104
	;; [unrolled: 1-line block ×6, first 2 shown]
	ds_load_b32 v28, v3
	ds_load_u16 v3, v1 offset:210
	global_wb scope:SCOPE_SE
	s_wait_loadcnt_dscnt 0x0
	s_barrier_signal -1
	s_barrier_wait -1
	global_inv scope:SCOPE_SE
	s_mul_u64 s[4:5], s[0:1], s[6:7]
	s_mul_u64 s[6:7], s[10:11], s[16:17]
	v_lshrrev_b32_e32 v29, 16, v18
	v_lshrrev_b32_e32 v30, 16, v19
	;; [unrolled: 1-line block ×15, first 2 shown]
	s_delay_alu instid0(VALU_DEP_4)
	v_mul_f16_e32 v44, v39, v37
	v_mul_f16_e32 v39, v39, v8
	;; [unrolled: 1-line block ×5, first 2 shown]
	v_fma_f16 v44, v4, v8, -v44
	v_fmac_f16_e32 v39, v4, v37
	v_lshrrev_b32_e32 v4, 16, v10
	v_fmac_f16_e32 v41, v5, v38
	v_mul_f16_e32 v38, v43, v27
	v_fma_f16 v37, v5, v9, -v45
	v_mul_f16_e32 v46, v42, v40
	v_mul_f16_e32 v8, v18, v4
	v_mul_f16_e32 v42, v42, v26
	v_fmac_f16_e32 v38, v3, v7
	v_mul_f16_e32 v3, v29, v4
	v_lshrrev_b32_e32 v4, 16, v11
	v_fma_f16 v27, v7, v27, -v47
	v_lshrrev_b32_e32 v7, 16, v12
	v_fmac_f16_e32 v8, v29, v10
	v_fma_f16 v9, v18, v10, -v3
	v_lshrrev_b32_e32 v18, 16, v28
	v_mul_f16_e32 v3, v30, v4
	v_mul_f16_e32 v4, v19, v4
	v_add_f16_e32 v10, v44, v28
	v_fma_f16 v26, v6, v26, -v46
	v_add_f16_e32 v29, v39, v18
	v_fmac_f16_e32 v42, v6, v40
	v_mul_f16_e32 v6, v31, v7
	v_fma_f16 v5, v19, v11, -v3
	v_fmac_f16_e32 v4, v30, v11
	v_add_f16_e32 v3, v10, v37
	v_add_f16_e32 v11, v29, v41
	v_fma_f16 v6, v20, v12, -v6
	v_mul_f16_e32 v7, v20, v7
	v_lshrrev_b32_e32 v40, 16, v13
	v_add_f16_e32 v3, v3, v26
	v_add_f16_e32 v20, v11, v42
	s_delay_alu instid0(VALU_DEP_4) | instskip(NEXT) | instid1(VALU_DEP_4)
	v_fmac_f16_e32 v7, v31, v12
	v_mul_f16_e32 v19, v32, v40
	s_delay_alu instid0(VALU_DEP_4) | instskip(NEXT) | instid1(VALU_DEP_4)
	v_add_f16_e32 v3, v3, v27
	v_add_f16_e32 v12, v20, v38
	v_mul_f16_e32 v10, v21, v40
	v_lshrrev_b32_e32 v20, 16, v16
	v_fma_f16 v11, v21, v13, -v19
	v_add_f16_e32 v3, v3, v9
	v_add_f16_e32 v12, v12, v8
	v_fmac_f16_e32 v10, v32, v13
	v_lshrrev_b32_e32 v13, 16, v14
	v_lshrrev_b32_e32 v19, 16, v15
	v_add_f16_e32 v3, v3, v5
	v_add_f16_e32 v12, v12, v4
	v_lshrrev_b32_e32 v21, 16, v17
	v_mul_f16_e32 v29, v33, v13
	v_mul_f16_e32 v13, v22, v13
	;; [unrolled: 1-line block ×3, first 2 shown]
	v_add_f16_e32 v3, v3, v6
	v_add_f16_e32 v12, v12, v7
	v_fma_f16 v22, v22, v14, -v29
	v_fmac_f16_e32 v13, v33, v14
	v_fma_f16 v14, v23, v15, -v30
	v_mul_f16_e32 v19, v23, v19
	v_mul_f16_e32 v23, v35, v20
	v_add_f16_e32 v3, v3, v11
	v_add_f16_e32 v12, v12, v10
	v_mul_f16_e32 v20, v24, v20
	v_fmac_f16_e32 v19, v34, v15
	v_fma_f16 v15, v24, v16, -v23
	v_add_f16_e32 v3, v3, v22
	v_add_f16_e32 v12, v12, v13
	v_fmac_f16_e32 v20, v35, v16
	v_mul_f16_e32 v16, v25, v21
	v_mul_f16_e32 v21, v36, v21
	v_add_f16_e32 v3, v3, v14
	v_add_f16_e32 v12, v12, v19
	v_sub_f16_e32 v51, v41, v20
	v_fmac_f16_e32 v16, v36, v17
	v_fma_f16 v17, v25, v17, -v21
	v_add_f16_e32 v3, v3, v15
	v_add_f16_e32 v12, v12, v20
	v_add_f16_e32 v53, v37, v15
	v_sub_f16_e32 v21, v39, v16
	v_add_f16_e32 v23, v44, v17
	v_add_f16_e32 v3, v3, v17
	;; [unrolled: 1-line block ×3, first 2 shown]
	v_sub_f16_e32 v17, v44, v17
	v_mul_f16_e32 v24, 0xb770, v21
	v_add_f16_e32 v16, v39, v16
	v_and_b32_e32 v3, 0xffff, v3
	v_lshlrev_b32_e32 v12, 16, v12
	v_mul_f16_e32 v29, 0xb770, v17
	v_fma_f16 v25, v23, 0x3b15, -v24
	v_mul_f16_e32 v31, 0xba95, v17
	v_mul_f16_e32 v34, 0xbbf1, v21
	v_or_b32_e32 v3, v12, v3
	v_mul_f16_e32 v35, 0xbbf1, v17
	v_add_f16_e32 v12, v25, v28
	v_mul_f16_e32 v25, 0xba95, v21
	v_mul_f16_e32 v39, 0xbb7b, v21
	v_mul_f16_e32 v44, 0xbb7b, v17
	v_mul_f16_e32 v45, 0xb94e, v21
	v_mul_f16_e32 v47, 0xb94e, v17
	v_mul_f16_e32 v21, 0xb3a8, v21
	v_mul_f16_e32 v17, 0xb3a8, v17
	v_mul_f16_e32 v54, 0xba95, v51
	v_sub_f16_e32 v15, v37, v15
	v_fmamk_f16 v30, v16, 0x3b15, v29
	v_fmac_f16_e32 v24, 0x3b15, v23
	v_fma_f16 v29, v16, 0x3b15, -v29
	v_fma_f16 v32, v23, 0x388b, -v25
	v_fmamk_f16 v33, v16, 0x388b, v31
	v_fmac_f16_e32 v25, 0x388b, v23
	v_fma_f16 v31, v16, 0x388b, -v31
	v_fma_f16 v36, v23, 0x2fb7, -v34
	;; [unrolled: 4-line block ×6, first 2 shown]
	v_add_f16_e32 v20, v41, v20
	v_mul_f16_e32 v23, 0xba95, v15
	v_add_f16_e32 v30, v30, v18
	v_add_f16_e32 v24, v24, v28
	;; [unrolled: 1-line block ×24, first 2 shown]
	v_mul_f16_e32 v17, 0xbb7b, v51
	v_fmamk_f16 v18, v20, 0x388b, v23
	v_fma_f16 v23, v20, 0x388b, -v23
	v_mul_f16_e32 v28, 0xbb7b, v15
	v_mul_f16_e32 v41, 0x3bf1, v15
	v_fma_f16 v37, v53, 0xb5ac, -v17
	v_add_f16_e32 v18, v18, v30
	v_add_f16_e32 v23, v23, v29
	v_fmamk_f16 v29, v20, 0xb5ac, v28
	v_fmac_f16_e32 v17, 0xb5ac, v53
	v_add_f16_e32 v30, v37, v32
	v_mul_f16_e32 v32, 0xb3a8, v51
	v_fma_f16 v28, v20, 0xb5ac, -v28
	v_add_f16_e32 v29, v29, v33
	v_mul_f16_e32 v33, 0xb3a8, v15
	v_add_f16_e32 v17, v17, v25
	v_fma_f16 v37, v53, 0xbbc4, -v32
	v_add_f16_e32 v25, v28, v31
	v_mul_f16_e32 v28, 0x394e, v51
	v_fmamk_f16 v31, v20, 0xbbc4, v33
	v_fma_f16 v33, v20, 0xbbc4, -v33
	v_add_f16_e32 v36, v37, v36
	v_fmac_f16_e32 v32, 0xbbc4, v53
	v_fma_f16 v37, v53, 0xb9fd, -v28
	v_fmac_f16_e32 v28, 0xb9fd, v53
	v_add_f16_e32 v33, v33, v35
	v_mul_f16_e32 v35, 0x3bf1, v51
	v_add_f16_e32 v32, v32, v34
	v_add_f16_e32 v34, v37, v43
	;; [unrolled: 1-line block ×3, first 2 shown]
	v_mul_f16_e32 v40, 0x394e, v15
	v_fma_f16 v43, v53, 0x2fb7, -v35
	v_fmac_f16_e32 v35, 0x2fb7, v53
	v_add_f16_e32 v28, v28, v39
	v_fmamk_f16 v39, v20, 0x2fb7, v41
	v_fma_f16 v41, v20, 0x2fb7, -v41
	v_fmamk_f16 v37, v20, 0xb9fd, v40
	v_add_f16_e32 v35, v35, v45
	v_sub_f16_e32 v45, v42, v19
	v_fma_f16 v40, v20, 0xb9fd, -v40
	v_add_f16_e32 v39, v39, v49
	v_mul_f16_e32 v15, 0x3770, v15
	v_add_f16_e32 v41, v41, v47
	v_add_f16_e32 v47, v26, v14
	v_mul_f16_e32 v49, 0xbbf1, v45
	v_sub_f16_e32 v14, v26, v14
	v_fmac_f16_e32 v54, 0x388b, v53
	v_add_f16_e32 v40, v40, v44
	v_add_f16_e32 v43, v43, v48
	v_mul_f16_e32 v44, 0x3770, v51
	v_fmamk_f16 v48, v20, 0x3b15, v15
	v_fma_f16 v15, v20, 0x3b15, -v15
	v_fma_f16 v20, v47, 0x2fb7, -v49
	v_add_f16_e32 v19, v42, v19
	v_mul_f16_e32 v26, 0xbbf1, v14
	v_add_f16_e32 v24, v54, v24
	v_add_f16_e32 v37, v37, v46
	v_fma_f16 v46, v53, 0x3b15, -v44
	v_fmac_f16_e32 v44, 0x3b15, v53
	v_add_f16_e32 v15, v15, v16
	v_add_f16_e32 v12, v20, v12
	v_mul_f16_e32 v16, 0xb3a8, v45
	v_fmamk_f16 v20, v19, 0x2fb7, v26
	v_fmac_f16_e32 v49, 0x2fb7, v47
	v_mul_f16_e32 v42, 0xb3a8, v14
	v_add_f16_e32 v21, v44, v21
	v_fma_f16 v26, v19, 0x2fb7, -v26
	v_fma_f16 v44, v47, 0xbbc4, -v16
	v_add_f16_e32 v18, v20, v18
	v_add_f16_e32 v20, v49, v24
	v_fmamk_f16 v24, v19, 0xbbc4, v42
	v_add_f16_e32 v23, v26, v23
	v_add_f16_e32 v26, v44, v30
	v_mul_f16_e32 v30, 0x3b7b, v45
	v_fmac_f16_e32 v16, 0xbbc4, v47
	v_fma_f16 v42, v19, 0xbbc4, -v42
	v_add_f16_e32 v24, v24, v29
	v_mul_f16_e32 v29, 0x3b7b, v14
	v_fma_f16 v44, v47, 0xb5ac, -v30
	v_add_f16_e32 v16, v16, v17
	v_add_f16_e32 v17, v42, v25
	v_mul_f16_e32 v25, 0x3770, v45
	v_fmamk_f16 v42, v19, 0xb5ac, v29
	v_add_f16_e32 v36, v44, v36
	v_fmac_f16_e32 v30, 0xb5ac, v47
	v_fma_f16 v29, v19, 0xb5ac, -v29
	v_fma_f16 v44, v47, 0x3b15, -v25
	v_add_f16_e32 v31, v42, v31
	v_mul_f16_e32 v42, 0x3770, v14
	v_add_f16_e32 v30, v30, v32
	v_add_f16_e32 v29, v29, v33
	v_add_f16_e32 v32, v44, v34
	v_mul_f16_e32 v33, 0xba95, v45
	v_fmamk_f16 v34, v19, 0x3b15, v42
	v_fmac_f16_e32 v25, 0x3b15, v47
	v_mul_f16_e32 v44, 0xba95, v14
	v_fma_f16 v42, v19, 0x3b15, -v42
	v_fma_f16 v49, v47, 0x388b, -v33
	v_add_f16_e32 v34, v34, v37
	v_add_f16_e32 v25, v25, v28
	v_fmamk_f16 v28, v19, 0x388b, v44
	v_add_f16_e32 v37, v42, v40
	v_mul_f16_e32 v42, 0xb94e, v45
	v_fmac_f16_e32 v33, 0x388b, v47
	v_add_f16_e32 v46, v46, v50
	v_add_f16_e32 v40, v49, v43
	;; [unrolled: 1-line block ×3, first 2 shown]
	v_fma_f16 v39, v19, 0x388b, -v44
	v_fma_f16 v43, v47, 0xb9fd, -v42
	v_add_f16_e32 v33, v33, v35
	v_sub_f16_e32 v35, v38, v13
	v_mul_f16_e32 v14, 0xb94e, v14
	v_add_f16_e32 v39, v39, v41
	v_add_f16_e32 v41, v43, v46
	;; [unrolled: 1-line block ×3, first 2 shown]
	v_mul_f16_e32 v45, 0xbb7b, v35
	v_sub_f16_e32 v22, v27, v22
	v_fmamk_f16 v44, v19, 0xb9fd, v14
	v_fma_f16 v14, v19, 0xb9fd, -v14
	v_add_f16_e32 v13, v38, v13
	v_fma_f16 v19, v43, 0xb5ac, -v45
	v_mul_f16_e32 v27, 0xbb7b, v22
	v_fmac_f16_e32 v42, 0xb9fd, v47
	v_add_f16_e32 v14, v14, v15
	v_mul_f16_e32 v15, 0x394e, v35
	v_add_f16_e32 v12, v19, v12
	v_fmamk_f16 v19, v13, 0xb5ac, v27
	v_fmac_f16_e32 v45, 0xb5ac, v43
	v_fma_f16 v27, v13, 0xb5ac, -v27
	v_mul_f16_e32 v38, 0x394e, v22
	v_add_f16_e32 v21, v42, v21
	v_fma_f16 v42, v43, 0xb9fd, -v15
	v_add_f16_e32 v18, v19, v18
	v_add_f16_e32 v19, v45, v20
	;; [unrolled: 1-line block ×3, first 2 shown]
	v_fmamk_f16 v23, v13, 0xb9fd, v38
	v_mul_f16_e32 v27, 0x3770, v35
	v_fmac_f16_e32 v15, 0xb9fd, v43
	v_fma_f16 v38, v13, 0xb9fd, -v38
	v_add_f16_e32 v26, v42, v26
	v_add_f16_e32 v23, v23, v24
	v_mul_f16_e32 v24, 0x3770, v22
	v_fma_f16 v42, v43, 0x3b15, -v27
	v_add_f16_e32 v15, v15, v16
	v_add_f16_e32 v16, v38, v17
	v_mul_f16_e32 v17, 0xbbf1, v35
	v_fmamk_f16 v38, v13, 0x3b15, v24
	v_add_f16_e32 v36, v42, v36
	v_fmac_f16_e32 v27, 0x3b15, v43
	v_fma_f16 v24, v13, 0x3b15, -v24
	v_fma_f16 v42, v43, 0x2fb7, -v17
	v_add_f16_e32 v31, v38, v31
	v_mul_f16_e32 v38, 0xbbf1, v22
	v_add_f16_e32 v27, v27, v30
	v_add_f16_e32 v24, v24, v29
	;; [unrolled: 1-line block ×3, first 2 shown]
	v_mul_f16_e32 v30, 0x33a8, v35
	v_fmac_f16_e32 v17, 0x2fb7, v43
	v_mul_f16_e32 v42, 0x33a8, v22
	v_fmamk_f16 v32, v13, 0x2fb7, v38
	v_fma_f16 v38, v13, 0x2fb7, -v38
	v_fma_f16 v45, v43, 0xbbc4, -v30
	v_add_f16_e32 v17, v17, v25
	v_fmamk_f16 v25, v13, 0xbbc4, v42
	v_mul_f16_e32 v35, 0x3a95, v35
	v_fmac_f16_e32 v30, 0xbbc4, v43
	v_add_f16_e32 v32, v32, v34
	v_add_f16_e32 v34, v38, v37
	;; [unrolled: 1-line block ×3, first 2 shown]
	v_fma_f16 v28, v13, 0xbbc4, -v42
	v_fma_f16 v38, v43, 0x388b, -v35
	v_add_f16_e32 v30, v30, v33
	v_sub_f16_e32 v33, v8, v10
	v_mul_f16_e32 v22, 0x3a95, v22
	v_add_f16_e32 v28, v28, v39
	v_add_f16_e32 v38, v38, v41
	;; [unrolled: 1-line block ×3, first 2 shown]
	v_mul_f16_e32 v41, 0xb94e, v33
	v_sub_f16_e32 v9, v9, v11
	v_add_f16_e32 v37, v45, v40
	v_fmamk_f16 v40, v13, 0x388b, v22
	v_fma_f16 v11, v13, 0x388b, -v22
	v_fma_f16 v13, v39, 0xb9fd, -v41
	v_add_f16_e32 v8, v8, v10
	v_mul_f16_e32 v10, 0xb94e, v9
	v_fmac_f16_e32 v35, 0x388b, v43
	v_add_f16_e32 v11, v11, v14
	v_add_f16_e32 v12, v13, v12
	v_mul_f16_e32 v13, 0x3bf1, v33
	v_fmamk_f16 v14, v8, 0xb9fd, v10
	v_fmac_f16_e32 v41, 0xb9fd, v39
	v_mul_f16_e32 v22, 0x3bf1, v9
	v_add_f16_e32 v21, v35, v21
	v_fma_f16 v10, v8, 0xb9fd, -v10
	v_fma_f16 v35, v39, 0x2fb7, -v13
	v_add_f16_e32 v14, v14, v18
	v_add_f16_e32 v18, v41, v19
	v_fmamk_f16 v19, v8, 0x2fb7, v22
	v_add_f16_e32 v10, v10, v20
	v_add_f16_e32 v20, v35, v26
	v_mul_f16_e32 v26, 0xba95, v33
	v_fmac_f16_e32 v13, 0x2fb7, v39
	v_fma_f16 v22, v8, 0x2fb7, -v22
	v_add_f16_e32 v19, v19, v23
	v_mul_f16_e32 v23, 0xba95, v9
	v_fma_f16 v35, v39, 0x388b, -v26
	v_add_f16_e32 v13, v13, v15
	v_add_f16_e32 v15, v22, v16
	v_mul_f16_e32 v16, 0x33a8, v33
	v_fmamk_f16 v22, v8, 0x388b, v23
	v_add_f16_e32 v35, v35, v36
	v_fmac_f16_e32 v26, 0x388b, v39
	v_fma_f16 v23, v8, 0x388b, -v23
	v_fma_f16 v36, v39, 0xbbc4, -v16
	v_add_f16_e32 v22, v22, v31
	v_mul_f16_e32 v31, 0x33a8, v9
	v_add_f16_e32 v48, v48, v52
	v_add_f16_e32 v26, v26, v27
	;; [unrolled: 1-line block ×4, first 2 shown]
	v_mul_f16_e32 v27, 0x3770, v33
	v_fmamk_f16 v29, v8, 0xbbc4, v31
	v_fmac_f16_e32 v16, 0xbbc4, v39
	v_fma_f16 v31, v8, 0xbbc4, -v31
	v_mul_f16_e32 v36, 0x3770, v9
	v_add_f16_e32 v44, v44, v48
	v_fma_f16 v41, v39, 0x3b15, -v27
	v_add_f16_e32 v16, v16, v17
	v_add_f16_e32 v17, v31, v34
	v_fmamk_f16 v31, v8, 0x3b15, v36
	v_mul_f16_e32 v33, 0xbb7b, v33
	v_mul_f16_e32 v9, 0xbb7b, v9
	v_fmac_f16_e32 v27, 0x3b15, v39
	v_add_f16_e32 v40, v40, v44
	v_add_f16_e32 v25, v31, v25
	v_fma_f16 v31, v8, 0x3b15, -v36
	v_fma_f16 v34, v39, 0xb5ac, -v33
	v_fmamk_f16 v36, v8, 0xb5ac, v9
	v_add_f16_e32 v27, v27, v30
	v_sub_f16_e32 v30, v4, v7
	v_add_f16_e32 v29, v29, v32
	v_add_f16_e32 v32, v41, v37
	v_add_f16_e32 v28, v31, v28
	v_add_f16_e32 v31, v34, v38
	v_add_f16_e32 v34, v36, v40
	v_add_f16_e32 v36, v5, v6
	v_mul_f16_e32 v37, 0xb3a8, v30
	v_sub_f16_e32 v5, v5, v6
	v_fma_f16 v6, v8, 0xb5ac, -v9
	v_fmac_f16_e32 v33, 0xb5ac, v39
	v_add_f16_e32 v4, v4, v7
	v_fma_f16 v7, v36, 0xbbc4, -v37
	v_mul_f16_e32 v8, 0xb3a8, v5
	v_add_f16_e32 v6, v6, v11
	v_mul_f16_e32 v11, 0x3770, v30
	v_add_f16_e32 v9, v33, v21
	v_add_f16_e32 v7, v7, v12
	v_fmamk_f16 v12, v4, 0xbbc4, v8
	v_fmac_f16_e32 v37, 0xbbc4, v36
	v_fma_f16 v8, v4, 0xbbc4, -v8
	v_fma_f16 v21, v36, 0x3b15, -v11
	v_mul_f16_e32 v33, 0x3770, v5
	v_add_f16_e32 v12, v12, v14
	v_add_f16_e32 v14, v37, v18
	;; [unrolled: 1-line block ×4, first 2 shown]
	v_fmamk_f16 v18, v4, 0x3b15, v33
	v_mul_f16_e32 v20, 0xb94e, v30
	v_fmac_f16_e32 v11, 0x3b15, v36
	v_fma_f16 v21, v4, 0x3b15, -v33
	v_mul_f16_e32 v33, 0xb94e, v5
	v_add_f16_e32 v18, v18, v19
	v_fma_f16 v19, v36, 0xb9fd, -v20
	v_add_f16_e32 v11, v11, v13
	v_add_f16_e32 v13, v21, v15
	v_fmamk_f16 v15, v4, 0xb9fd, v33
	v_mul_f16_e32 v21, 0x3a95, v30
	v_fmac_f16_e32 v20, 0xb9fd, v36
	v_add_f16_e32 v19, v19, v35
	v_fma_f16 v33, v4, 0xb9fd, -v33
	v_add_f16_e32 v15, v15, v22
	v_fma_f16 v22, v36, 0x388b, -v21
	v_mul_f16_e32 v35, 0x3a95, v5
	v_add_f16_e32 v20, v20, v26
	v_mul_f16_e32 v26, 0xbb7b, v30
	v_add_f16_e32 v23, v33, v23
	v_add_f16_e32 v22, v22, v24
	v_fmamk_f16 v24, v4, 0x388b, v35
	v_fmac_f16_e32 v21, 0x388b, v36
	v_fma_f16 v33, v4, 0x388b, -v35
	v_fma_f16 v35, v36, 0xb5ac, -v26
	v_mul_f16_e32 v37, 0xbb7b, v5
	v_add_f16_e32 v24, v24, v29
	v_add_f16_e32 v16, v21, v16
	v_fmac_f16_e32 v26, 0xb5ac, v36
	v_add_f16_e32 v21, v35, v32
	v_fmamk_f16 v29, v4, 0xb5ac, v37
	v_fma_f16 v32, v4, 0xb5ac, -v37
	v_mul_f16_e32 v30, 0x3bf1, v30
	v_mul_f16_e32 v5, 0x3bf1, v5
	v_add_f16_e32 v26, v26, v27
	v_add_f16_e32 v25, v29, v25
	;; [unrolled: 1-line block ×3, first 2 shown]
	v_fma_f16 v28, v36, 0x2fb7, -v30
	v_fmamk_f16 v29, v4, 0x2fb7, v5
	v_mul_u32_u24_e32 v32, 0x1556, v0
	v_fma_f16 v4, v4, 0x2fb7, -v5
	v_fmac_f16_e32 v30, 0x2fb7, v36
	v_add_f16_e32 v5, v28, v31
	v_add_f16_e32 v28, v29, v34
	v_lshrrev_b32_e32 v29, 16, v32
	v_add_f16_e32 v4, v4, v6
	v_pack_b32_f16 v7, v7, v12
	v_pack_b32_f16 v10, v10, v18
	;; [unrolled: 1-line block ×3, first 2 shown]
	v_mul_lo_u16 v6, v29, 12
	v_add_f16_e32 v9, v30, v9
	v_pack_b32_f16 v15, v22, v24
	ds_store_2addr_b32 v1, v3, v7 offset1:13
	ds_store_2addr_b32 v1, v10, v12 offset0:26 offset1:39
	v_pack_b32_f16 v5, v5, v28
	v_sub_nc_u16 v0, v0, v6
	v_pack_b32_f16 v6, v21, v25
	v_add_f16_e32 v17, v33, v17
	v_pack_b32_f16 v8, v14, v8
	s_delay_alu instid0(VALU_DEP_4)
	v_and_b32_e32 v7, 0xffff, v0
	ds_store_2addr_b32 v1, v15, v6 offset0:52 offset1:65
	v_pack_b32_f16 v6, v9, v4
	v_pack_b32_f16 v9, v26, v27
	;; [unrolled: 1-line block ×3, first 2 shown]
	v_mad_co_u64_u32 v[3:4], null, s0, v7, 0
	ds_store_2addr_b32 v1, v5, v6 offset0:78 offset1:91
	v_pack_b32_f16 v5, v20, v23
	v_pack_b32_f16 v6, v11, v13
	v_mul_lo_u16 v11, 0xa9, v0
	ds_store_2addr_b32 v1, v9, v10 offset0:104 offset1:117
	ds_store_b32 v1, v8 offset:624
	v_mov_b32_e32 v0, v4
	ds_store_2addr_b32 v1, v5, v6 offset0:130 offset1:143
	v_and_b32_e32 v6, 0xffff, v11
	global_wb scope:SCOPE_SE
	s_wait_dscnt 0x0
	s_barrier_signal -1
	v_mad_co_u64_u32 v[4:5], null, s1, v7, v[0:1]
	v_lshlrev_b32_e32 v0, 2, v6
	v_lshlrev_b32_e32 v7, 2, v29
	v_mul_lo_u32 v1, s8, v29
	s_lshl_b64 s[0:1], s[4:5], 2
	s_mul_i32 s8, s8, 13
	s_wait_alu 0xfffe
	s_add_nc_u64 s[0:1], s[14:15], s[0:1]
	v_add3_u32 v5, 0, v0, v7
	v_lshlrev_b64_e32 v[3:4], 2, v[3:4]
	s_wait_alu 0xfffe
	s_add_nc_u64 s[0:1], s[0:1], s[2:3]
	s_lshl_b64 s[2:3], s[6:7], 2
	s_barrier_wait -1
	global_inv scope:SCOPE_SE
	ds_load_b32 v17, v5
	v_lshlrev_b64_e32 v[5:6], 2, v[1:2]
	v_add_nc_u32_e32 v1, s8, v1
	s_wait_alu 0xfffe
	s_add_nc_u64 s[0:1], s[0:1], s[2:3]
	v_add3_u32 v0, 0, v7, v0
	s_wait_alu 0xfffe
	v_add_co_u32 v19, vcc_lo, s0, v3
	s_wait_alu 0xfffd
	v_add_co_ci_u32_e32 v20, vcc_lo, s1, v4, vcc_lo
	v_lshlrev_b64_e32 v[3:4], 2, v[1:2]
	v_add_nc_u32_e32 v1, s8, v1
	ds_load_2addr_b32 v[7:8], v0 offset0:13 offset1:26
	ds_load_2addr_b32 v[11:12], v0 offset0:39 offset1:52
	v_add_co_u32 v5, vcc_lo, v19, v5
	v_lshlrev_b64_e32 v[9:10], 2, v[1:2]
	v_add_nc_u32_e32 v1, s8, v1
	s_wait_alu 0xfffd
	v_add_co_ci_u32_e32 v6, vcc_lo, v20, v6, vcc_lo
	v_add_co_u32 v3, vcc_lo, v19, v3
	s_delay_alu instid0(VALU_DEP_3)
	v_lshlrev_b64_e32 v[13:14], 2, v[1:2]
	v_add_nc_u32_e32 v1, s8, v1
	s_wait_alu 0xfffd
	v_add_co_ci_u32_e32 v4, vcc_lo, v20, v4, vcc_lo
	v_add_co_u32 v9, vcc_lo, v19, v9
	s_wait_alu 0xfffd
	v_add_co_ci_u32_e32 v10, vcc_lo, v20, v10, vcc_lo
	v_lshlrev_b64_e32 v[15:16], 2, v[1:2]
	v_add_nc_u32_e32 v1, s8, v1
	v_add_co_u32 v13, vcc_lo, v19, v13
	s_wait_alu 0xfffd
	v_add_co_ci_u32_e32 v14, vcc_lo, v20, v14, vcc_lo
	s_wait_dscnt 0x2
	global_store_b32 v[5:6], v17, off
	s_wait_dscnt 0x1
	s_clause 0x1
	global_store_b32 v[3:4], v7, off
	global_store_b32 v[9:10], v8, off
	s_wait_dscnt 0x0
	global_store_b32 v[13:14], v11, off
	v_lshlrev_b64_e32 v[3:4], 2, v[1:2]
	v_add_nc_u32_e32 v1, s8, v1
	ds_load_2addr_b32 v[7:8], v0 offset0:65 offset1:78
	ds_load_2addr_b32 v[13:14], v0 offset0:91 offset1:104
	v_add_co_u32 v5, vcc_lo, v19, v15
	v_lshlrev_b64_e32 v[9:10], 2, v[1:2]
	v_add_nc_u32_e32 v1, s8, v1
	s_wait_alu 0xfffd
	v_add_co_ci_u32_e32 v6, vcc_lo, v20, v16, vcc_lo
	v_add_co_u32 v3, vcc_lo, v19, v3
	s_delay_alu instid0(VALU_DEP_3)
	v_lshlrev_b64_e32 v[15:16], 2, v[1:2]
	v_add_nc_u32_e32 v1, s8, v1
	s_wait_alu 0xfffd
	v_add_co_ci_u32_e32 v4, vcc_lo, v20, v4, vcc_lo
	v_add_co_u32 v9, vcc_lo, v19, v9
	s_wait_alu 0xfffd
	v_add_co_ci_u32_e32 v10, vcc_lo, v20, v10, vcc_lo
	v_lshlrev_b64_e32 v[17:18], 2, v[1:2]
	v_add_nc_u32_e32 v1, s8, v1
	v_add_co_u32 v15, vcc_lo, v19, v15
	s_wait_alu 0xfffd
	v_add_co_ci_u32_e32 v16, vcc_lo, v20, v16, vcc_lo
	global_store_b32 v[5:6], v12, off
	s_wait_dscnt 0x1
	s_clause 0x1
	global_store_b32 v[3:4], v7, off
	global_store_b32 v[9:10], v8, off
	s_wait_dscnt 0x0
	global_store_b32 v[15:16], v13, off
	v_lshlrev_b64_e32 v[3:4], 2, v[1:2]
	v_add_nc_u32_e32 v1, s8, v1
	ds_load_2addr_b32 v[7:8], v0 offset0:117 offset1:130
	ds_load_2addr_b32 v[11:12], v0 offset0:143 offset1:156
	v_add_co_u32 v5, vcc_lo, v19, v17
	v_lshlrev_b64_e32 v[9:10], 2, v[1:2]
	v_add_nc_u32_e32 v1, s8, v1
	s_wait_alu 0xfffd
	v_add_co_ci_u32_e32 v6, vcc_lo, v20, v18, vcc_lo
	v_add_co_u32 v3, vcc_lo, v19, v3
	s_delay_alu instid0(VALU_DEP_3) | instskip(SKIP_4) | instid1(VALU_DEP_3)
	v_lshlrev_b64_e32 v[15:16], 2, v[1:2]
	v_add_nc_u32_e32 v1, s8, v1
	s_wait_alu 0xfffd
	v_add_co_ci_u32_e32 v4, vcc_lo, v20, v4, vcc_lo
	v_add_co_u32 v9, vcc_lo, v19, v9
	v_lshlrev_b64_e32 v[0:1], 2, v[1:2]
	s_wait_alu 0xfffd
	v_add_co_ci_u32_e32 v10, vcc_lo, v20, v10, vcc_lo
	v_add_co_u32 v15, vcc_lo, v19, v15
	s_wait_alu 0xfffd
	v_add_co_ci_u32_e32 v16, vcc_lo, v20, v16, vcc_lo
	v_add_co_u32 v0, vcc_lo, v19, v0
	s_wait_alu 0xfffd
	v_add_co_ci_u32_e32 v1, vcc_lo, v20, v1, vcc_lo
	global_store_b32 v[5:6], v14, off
	s_wait_dscnt 0x1
	s_clause 0x1
	global_store_b32 v[3:4], v7, off
	global_store_b32 v[9:10], v8, off
	s_wait_dscnt 0x0
	s_clause 0x1
	global_store_b32 v[15:16], v11, off
	global_store_b32 v[0:1], v12, off
	s_nop 0
	s_sendmsg sendmsg(MSG_DEALLOC_VGPRS)
	s_endpgm
	.section	.rodata,"a",@progbits
	.p2align	6, 0x0
	.amdhsa_kernel fft_rtc_fwd_len169_factors_13_13_wgs_156_tpt_13_half_op_CI_CI_sbrc_z_xy_aligned
		.amdhsa_group_segment_fixed_size 0
		.amdhsa_private_segment_fixed_size 0
		.amdhsa_kernarg_size 104
		.amdhsa_user_sgpr_count 2
		.amdhsa_user_sgpr_dispatch_ptr 0
		.amdhsa_user_sgpr_queue_ptr 0
		.amdhsa_user_sgpr_kernarg_segment_ptr 1
		.amdhsa_user_sgpr_dispatch_id 0
		.amdhsa_user_sgpr_private_segment_size 0
		.amdhsa_wavefront_size32 1
		.amdhsa_uses_dynamic_stack 0
		.amdhsa_enable_private_segment 0
		.amdhsa_system_sgpr_workgroup_id_x 1
		.amdhsa_system_sgpr_workgroup_id_y 0
		.amdhsa_system_sgpr_workgroup_id_z 0
		.amdhsa_system_sgpr_workgroup_info 0
		.amdhsa_system_vgpr_workitem_id 0
		.amdhsa_next_free_vgpr 91
		.amdhsa_next_free_sgpr 26
		.amdhsa_reserve_vcc 1
		.amdhsa_float_round_mode_32 0
		.amdhsa_float_round_mode_16_64 0
		.amdhsa_float_denorm_mode_32 3
		.amdhsa_float_denorm_mode_16_64 3
		.amdhsa_fp16_overflow 0
		.amdhsa_workgroup_processor_mode 1
		.amdhsa_memory_ordered 1
		.amdhsa_forward_progress 0
		.amdhsa_round_robin_scheduling 0
		.amdhsa_exception_fp_ieee_invalid_op 0
		.amdhsa_exception_fp_denorm_src 0
		.amdhsa_exception_fp_ieee_div_zero 0
		.amdhsa_exception_fp_ieee_overflow 0
		.amdhsa_exception_fp_ieee_underflow 0
		.amdhsa_exception_fp_ieee_inexact 0
		.amdhsa_exception_int_div_zero 0
	.end_amdhsa_kernel
	.text
.Lfunc_end0:
	.size	fft_rtc_fwd_len169_factors_13_13_wgs_156_tpt_13_half_op_CI_CI_sbrc_z_xy_aligned, .Lfunc_end0-fft_rtc_fwd_len169_factors_13_13_wgs_156_tpt_13_half_op_CI_CI_sbrc_z_xy_aligned
                                        ; -- End function
	.section	.AMDGPU.csdata,"",@progbits
; Kernel info:
; codeLenInByte = 10064
; NumSgprs: 28
; NumVgprs: 91
; ScratchSize: 0
; MemoryBound: 0
; FloatMode: 240
; IeeeMode: 1
; LDSByteSize: 0 bytes/workgroup (compile time only)
; SGPRBlocks: 3
; VGPRBlocks: 11
; NumSGPRsForWavesPerEU: 28
; NumVGPRsForWavesPerEU: 91
; Occupancy: 15
; WaveLimiterHint : 1
; COMPUTE_PGM_RSRC2:SCRATCH_EN: 0
; COMPUTE_PGM_RSRC2:USER_SGPR: 2
; COMPUTE_PGM_RSRC2:TRAP_HANDLER: 0
; COMPUTE_PGM_RSRC2:TGID_X_EN: 1
; COMPUTE_PGM_RSRC2:TGID_Y_EN: 0
; COMPUTE_PGM_RSRC2:TGID_Z_EN: 0
; COMPUTE_PGM_RSRC2:TIDIG_COMP_CNT: 0
	.text
	.p2alignl 7, 3214868480
	.fill 96, 4, 3214868480
	.type	__hip_cuid_3cf371f2375b1e4c,@object ; @__hip_cuid_3cf371f2375b1e4c
	.section	.bss,"aw",@nobits
	.globl	__hip_cuid_3cf371f2375b1e4c
__hip_cuid_3cf371f2375b1e4c:
	.byte	0                               ; 0x0
	.size	__hip_cuid_3cf371f2375b1e4c, 1

	.ident	"AMD clang version 19.0.0git (https://github.com/RadeonOpenCompute/llvm-project roc-6.4.0 25133 c7fe45cf4b819c5991fe208aaa96edf142730f1d)"
	.section	".note.GNU-stack","",@progbits
	.addrsig
	.addrsig_sym __hip_cuid_3cf371f2375b1e4c
	.amdgpu_metadata
---
amdhsa.kernels:
  - .args:
      - .actual_access:  read_only
        .address_space:  global
        .offset:         0
        .size:           8
        .value_kind:     global_buffer
      - .offset:         8
        .size:           8
        .value_kind:     by_value
      - .actual_access:  read_only
        .address_space:  global
        .offset:         16
        .size:           8
        .value_kind:     global_buffer
      - .actual_access:  read_only
        .address_space:  global
        .offset:         24
        .size:           8
        .value_kind:     global_buffer
      - .actual_access:  read_only
        .address_space:  global
        .offset:         32
        .size:           8
        .value_kind:     global_buffer
      - .offset:         40
        .size:           8
        .value_kind:     by_value
      - .actual_access:  read_only
        .address_space:  global
        .offset:         48
        .size:           8
        .value_kind:     global_buffer
      - .actual_access:  read_only
        .address_space:  global
        .offset:         56
        .size:           8
        .value_kind:     global_buffer
      - .offset:         64
        .size:           4
        .value_kind:     by_value
      - .actual_access:  read_only
        .address_space:  global
        .offset:         72
        .size:           8
        .value_kind:     global_buffer
      - .actual_access:  read_only
        .address_space:  global
        .offset:         80
        .size:           8
        .value_kind:     global_buffer
      - .actual_access:  read_only
        .address_space:  global
        .offset:         88
        .size:           8
        .value_kind:     global_buffer
      - .actual_access:  write_only
        .address_space:  global
        .offset:         96
        .size:           8
        .value_kind:     global_buffer
    .group_segment_fixed_size: 0
    .kernarg_segment_align: 8
    .kernarg_segment_size: 104
    .language:       OpenCL C
    .language_version:
      - 2
      - 0
    .max_flat_workgroup_size: 156
    .name:           fft_rtc_fwd_len169_factors_13_13_wgs_156_tpt_13_half_op_CI_CI_sbrc_z_xy_aligned
    .private_segment_fixed_size: 0
    .sgpr_count:     28
    .sgpr_spill_count: 0
    .symbol:         fft_rtc_fwd_len169_factors_13_13_wgs_156_tpt_13_half_op_CI_CI_sbrc_z_xy_aligned.kd
    .uniform_work_group_size: 1
    .uses_dynamic_stack: false
    .vgpr_count:     91
    .vgpr_spill_count: 0
    .wavefront_size: 32
    .workgroup_processor_mode: 1
amdhsa.target:   amdgcn-amd-amdhsa--gfx1201
amdhsa.version:
  - 1
  - 2
...

	.end_amdgpu_metadata
